;; amdgpu-corpus repo=ROCm/rocFFT kind=compiled arch=gfx950 opt=O3
	.text
	.amdgcn_target "amdgcn-amd-amdhsa--gfx950"
	.amdhsa_code_object_version 6
	.protected	fft_rtc_fwd_len900_factors_10_10_3_3_wgs_180_tpt_90_halfLds_half_ip_CI_unitstride_sbrr_C2R_dirReg ; -- Begin function fft_rtc_fwd_len900_factors_10_10_3_3_wgs_180_tpt_90_halfLds_half_ip_CI_unitstride_sbrr_C2R_dirReg
	.globl	fft_rtc_fwd_len900_factors_10_10_3_3_wgs_180_tpt_90_halfLds_half_ip_CI_unitstride_sbrr_C2R_dirReg
	.p2align	8
	.type	fft_rtc_fwd_len900_factors_10_10_3_3_wgs_180_tpt_90_halfLds_half_ip_CI_unitstride_sbrr_C2R_dirReg,@function
fft_rtc_fwd_len900_factors_10_10_3_3_wgs_180_tpt_90_halfLds_half_ip_CI_unitstride_sbrr_C2R_dirReg: ; @fft_rtc_fwd_len900_factors_10_10_3_3_wgs_180_tpt_90_halfLds_half_ip_CI_unitstride_sbrr_C2R_dirReg
; %bb.0:
	s_load_dwordx2 s[8:9], s[0:1], 0x50
	s_load_dwordx4 s[4:7], s[0:1], 0x0
	s_load_dwordx2 s[10:11], s[0:1], 0x18
	v_mul_u32_u24_e32 v1, 0x2d9, v0
	v_lshrrev_b32_e32 v1, 16, v1
	v_lshl_add_u32 v6, s2, 1, v1
	v_mov_b32_e32 v4, 0
	s_waitcnt lgkmcnt(0)
	v_cmp_lt_u64_e64 s[2:3], s[6:7], 2
	v_mov_b32_e32 v7, v4
	s_and_b64 vcc, exec, s[2:3]
	v_mov_b64_e32 v[2:3], 0
	s_cbranch_vccnz .LBB0_8
; %bb.1:
	s_load_dwordx2 s[2:3], s[0:1], 0x10
	s_add_u32 s12, s10, 8
	s_addc_u32 s13, s11, 0
	s_mov_b64 s[14:15], 1
	v_mov_b64_e32 v[2:3], 0
	s_waitcnt lgkmcnt(0)
	s_add_u32 s16, s2, 8
	s_addc_u32 s17, s3, 0
.LBB0_2:                                ; =>This Inner Loop Header: Depth=1
	s_load_dwordx2 s[18:19], s[16:17], 0x0
                                        ; implicit-def: $vgpr8_vgpr9
	s_waitcnt lgkmcnt(0)
	v_or_b32_e32 v5, s19, v7
	v_cmp_ne_u64_e32 vcc, 0, v[4:5]
	s_and_saveexec_b64 s[2:3], vcc
	s_xor_b64 s[20:21], exec, s[2:3]
	s_cbranch_execz .LBB0_4
; %bb.3:                                ;   in Loop: Header=BB0_2 Depth=1
	v_cvt_f32_u32_e32 v5, s18
	v_cvt_f32_u32_e32 v8, s19
	s_sub_u32 s2, 0, s18
	s_subb_u32 s3, 0, s19
	v_fmac_f32_e32 v5, 0x4f800000, v8
	v_rcp_f32_e32 v5, v5
	s_nop 0
	v_mul_f32_e32 v5, 0x5f7ffffc, v5
	v_mul_f32_e32 v8, 0x2f800000, v5
	v_trunc_f32_e32 v8, v8
	v_fmac_f32_e32 v5, 0xcf800000, v8
	v_cvt_u32_f32_e32 v12, v8
	v_cvt_u32_f32_e32 v5, v5
	v_mul_lo_u32 v8, s2, v12
	v_mul_hi_u32 v10, s2, v5
	v_mul_lo_u32 v9, s3, v5
	v_add_u32_e32 v10, v10, v8
	v_mul_lo_u32 v13, s2, v5
	v_add_u32_e32 v14, v10, v9
	v_mul_hi_u32 v8, v5, v13
	v_mul_hi_u32 v11, v5, v14
	v_mul_lo_u32 v10, v5, v14
	v_mov_b32_e32 v9, v4
	v_lshl_add_u64 v[8:9], v[8:9], 0, v[10:11]
	v_mul_hi_u32 v11, v12, v13
	v_mul_lo_u32 v13, v12, v13
	v_add_co_u32_e32 v8, vcc, v8, v13
	v_mul_hi_u32 v10, v12, v14
	s_nop 0
	v_addc_co_u32_e32 v8, vcc, v9, v11, vcc
	v_mov_b32_e32 v9, v4
	s_nop 0
	v_addc_co_u32_e32 v11, vcc, 0, v10, vcc
	v_mul_lo_u32 v10, v12, v14
	v_lshl_add_u64 v[8:9], v[8:9], 0, v[10:11]
	v_add_co_u32_e32 v5, vcc, v5, v8
	v_mul_lo_u32 v10, s2, v5
	s_nop 0
	v_addc_co_u32_e32 v12, vcc, v12, v9, vcc
	v_mul_lo_u32 v8, s2, v12
	v_mul_hi_u32 v9, s2, v5
	v_add_u32_e32 v8, v9, v8
	v_mul_lo_u32 v9, s3, v5
	v_add_u32_e32 v13, v8, v9
	v_mul_hi_u32 v15, v12, v10
	v_mul_lo_u32 v16, v12, v10
	v_mul_hi_u32 v9, v5, v13
	v_mul_lo_u32 v8, v5, v13
	v_mul_hi_u32 v10, v5, v10
	v_mov_b32_e32 v11, v4
	v_lshl_add_u64 v[8:9], v[10:11], 0, v[8:9]
	v_add_co_u32_e32 v8, vcc, v8, v16
	v_mul_hi_u32 v14, v12, v13
	s_nop 0
	v_addc_co_u32_e32 v8, vcc, v9, v15, vcc
	v_mul_lo_u32 v10, v12, v13
	s_nop 0
	v_addc_co_u32_e32 v11, vcc, 0, v14, vcc
	v_mov_b32_e32 v9, v4
	v_lshl_add_u64 v[8:9], v[8:9], 0, v[10:11]
	v_add_co_u32_e32 v5, vcc, v5, v8
	v_mul_hi_u32 v10, v6, v5
	s_nop 0
	v_addc_co_u32_e32 v12, vcc, v12, v9, vcc
	v_mad_u64_u32 v[8:9], s[2:3], v6, v12, 0
	v_mov_b32_e32 v11, v4
	v_lshl_add_u64 v[8:9], v[10:11], 0, v[8:9]
	v_mad_u64_u32 v[10:11], s[2:3], v7, v12, 0
	v_mad_u64_u32 v[12:13], s[2:3], v7, v5, 0
	v_add_co_u32_e32 v5, vcc, v8, v12
	s_nop 1
	v_addc_co_u32_e32 v8, vcc, v9, v13, vcc
	v_mov_b32_e32 v9, v4
	s_nop 0
	v_addc_co_u32_e32 v11, vcc, 0, v11, vcc
	v_lshl_add_u64 v[8:9], v[8:9], 0, v[10:11]
	v_mul_lo_u32 v5, s19, v8
	v_mul_lo_u32 v12, s18, v9
	v_mad_u64_u32 v[10:11], s[2:3], s18, v8, 0
	v_add3_u32 v5, v11, v12, v5
	v_sub_u32_e32 v11, v7, v5
	v_mov_b32_e32 v12, s19
	v_sub_co_u32_e32 v14, vcc, v6, v10
	s_nop 1
	v_subb_co_u32_e64 v10, s[2:3], v11, v12, vcc
	v_subrev_co_u32_e64 v11, s[2:3], s18, v14
	v_subb_co_u32_e32 v5, vcc, v7, v5, vcc
	s_nop 0
	v_subbrev_co_u32_e64 v10, s[2:3], 0, v10, s[2:3]
	v_cmp_le_u32_e64 s[2:3], s19, v10
	v_cmp_le_u32_e32 vcc, s19, v5
	s_nop 0
	v_cndmask_b32_e64 v12, 0, -1, s[2:3]
	v_cmp_le_u32_e64 s[2:3], s18, v11
	s_nop 1
	v_cndmask_b32_e64 v11, 0, -1, s[2:3]
	v_cmp_eq_u32_e64 s[2:3], s19, v10
	s_nop 1
	v_cndmask_b32_e64 v15, v12, v11, s[2:3]
	v_lshl_add_u64 v[10:11], v[8:9], 0, 2
	v_lshl_add_u64 v[12:13], v[8:9], 0, 1
	v_cmp_ne_u32_e64 s[2:3], 0, v15
	s_nop 1
	v_cndmask_b32_e64 v11, v13, v11, s[2:3]
	v_cndmask_b32_e64 v13, 0, -1, vcc
	v_cmp_le_u32_e32 vcc, s18, v14
	s_nop 1
	v_cndmask_b32_e64 v14, 0, -1, vcc
	v_cmp_eq_u32_e32 vcc, s19, v5
	s_nop 1
	v_cndmask_b32_e32 v5, v13, v14, vcc
	v_cmp_ne_u32_e32 vcc, 0, v5
	v_cndmask_b32_e64 v5, v12, v10, s[2:3]
	s_nop 0
	v_cndmask_b32_e32 v9, v9, v11, vcc
	v_cndmask_b32_e32 v8, v8, v5, vcc
.LBB0_4:                                ;   in Loop: Header=BB0_2 Depth=1
	s_andn2_saveexec_b64 s[2:3], s[20:21]
	s_cbranch_execz .LBB0_6
; %bb.5:                                ;   in Loop: Header=BB0_2 Depth=1
	v_cvt_f32_u32_e32 v5, s18
	s_sub_i32 s20, 0, s18
	v_rcp_iflag_f32_e32 v5, v5
	s_nop 0
	v_mul_f32_e32 v5, 0x4f7ffffe, v5
	v_cvt_u32_f32_e32 v5, v5
	v_mul_lo_u32 v8, s20, v5
	v_mul_hi_u32 v8, v5, v8
	v_add_u32_e32 v5, v5, v8
	v_mul_hi_u32 v5, v6, v5
	v_mul_lo_u32 v8, v5, s18
	v_sub_u32_e32 v8, v6, v8
	v_add_u32_e32 v9, 1, v5
	v_subrev_u32_e32 v10, s18, v8
	v_cmp_le_u32_e32 vcc, s18, v8
	s_nop 1
	v_cndmask_b32_e32 v8, v8, v10, vcc
	v_cndmask_b32_e32 v5, v5, v9, vcc
	v_add_u32_e32 v9, 1, v5
	v_cmp_le_u32_e32 vcc, s18, v8
	s_nop 1
	v_cndmask_b32_e32 v8, v5, v9, vcc
	v_mov_b32_e32 v9, v4
.LBB0_6:                                ;   in Loop: Header=BB0_2 Depth=1
	s_or_b64 exec, exec, s[2:3]
	v_mad_u64_u32 v[10:11], s[2:3], v8, s18, 0
	s_load_dwordx2 s[2:3], s[12:13], 0x0
	v_mul_lo_u32 v5, v9, s18
	v_mul_lo_u32 v12, v8, s19
	v_add3_u32 v5, v11, v12, v5
	v_sub_co_u32_e32 v6, vcc, v6, v10
	s_add_u32 s14, s14, 1
	s_nop 0
	v_subb_co_u32_e32 v5, vcc, v7, v5, vcc
	s_addc_u32 s15, s15, 0
	s_waitcnt lgkmcnt(0)
	v_mul_lo_u32 v5, s2, v5
	v_mul_lo_u32 v7, s3, v6
	v_mad_u64_u32 v[2:3], s[2:3], s2, v6, v[2:3]
	s_add_u32 s12, s12, 8
	v_add3_u32 v3, v7, v3, v5
	s_addc_u32 s13, s13, 0
	v_mov_b64_e32 v[6:7], s[6:7]
	s_add_u32 s16, s16, 8
	v_cmp_ge_u64_e32 vcc, s[14:15], v[6:7]
	s_addc_u32 s17, s17, 0
	s_cbranch_vccnz .LBB0_9
; %bb.7:                                ;   in Loop: Header=BB0_2 Depth=1
	v_mov_b64_e32 v[6:7], v[8:9]
	s_branch .LBB0_2
.LBB0_8:
	v_mov_b64_e32 v[8:9], v[6:7]
.LBB0_9:
	s_lshl_b64 s[2:3], s[6:7], 3
	s_add_u32 s2, s10, s2
	s_addc_u32 s3, s11, s3
	s_load_dwordx2 s[6:7], s[2:3], 0x0
	s_load_dwordx2 s[10:11], s[0:1], 0x20
	v_and_b32_e32 v1, 1, v1
	v_cmp_eq_u32_e32 vcc, 1, v1
	s_waitcnt lgkmcnt(0)
	v_mad_u64_u32 v[6:7], s[0:1], s6, v8, v[2:3]
	s_mov_b32 s0, 0x2d82d83
	v_mul_lo_u32 v4, s6, v9
	v_mul_lo_u32 v5, s7, v8
	v_mov_b32_e32 v2, 0x385
	v_mul_hi_u32 v1, v0, s0
	v_add3_u32 v7, v5, v7, v4
	v_cndmask_b32_e32 v4, 0, v2, vcc
	v_mul_u32_u24_e32 v1, 0x5a, v1
	v_cmp_gt_u64_e32 vcc, s[10:11], v[8:9]
	v_sub_u32_e32 v2, v0, v1
	v_lshl_add_u64 v[0:1], v[6:7], 2, s[8:9]
	v_lshlrev_b32_e32 v15, 2, v4
	s_and_saveexec_b64 s[2:3], vcc
	s_cbranch_execz .LBB0_13
; %bb.10:
	v_mov_b32_e32 v3, 0
	v_lshl_add_u64 v[6:7], v[2:3], 2, v[0:1]
	global_load_dword v5, v[6:7], off
	global_load_dword v8, v[6:7], off offset:360
	global_load_dword v9, v[6:7], off offset:720
	;; [unrolled: 1-line block ×9, first 2 shown]
	v_lshlrev_b32_e32 v3, 2, v2
	s_movk_i32 s0, 0x59
	v_add3_u32 v3, 0, v15, v3
	v_cmp_eq_u32_e64 s[0:1], s0, v2
	v_add_u32_e32 v6, 0x200, v3
	v_add_u32_e32 v7, 0x400, v3
	;; [unrolled: 1-line block ×4, first 2 shown]
	s_waitcnt vmcnt(8)
	ds_write2_b32 v3, v5, v8 offset1:90
	s_waitcnt vmcnt(6)
	ds_write2_b32 v6, v9, v10 offset0:52 offset1:142
	s_waitcnt vmcnt(4)
	ds_write2_b32 v7, v11, v12 offset0:104 offset1:194
	;; [unrolled: 2-line block ×4, first 2 shown]
	s_and_saveexec_b64 s[6:7], s[0:1]
	s_cbranch_execz .LBB0_12
; %bb.11:
	global_load_dword v2, v[0:1], off offset:3600
	s_waitcnt vmcnt(0)
	ds_write_b32 v3, v2 offset:3244
	v_mov_b32_e32 v2, 0x59
.LBB0_12:
	s_or_b64 exec, exec, s[6:7]
.LBB0_13:
	s_or_b64 exec, exec, s[2:3]
	v_lshl_add_u32 v14, v4, 2, 0
	v_lshlrev_b32_e32 v3, 2, v2
	v_add_u32_e32 v16, v14, v3
	s_waitcnt lgkmcnt(0)
	s_barrier
	v_sub_u32_e32 v6, v14, v3
	ds_read_u16 v9, v16
	ds_read_u16 v10, v6 offset:3600
	v_cmp_ne_u32_e64 s[0:1], 0, v2
                                        ; implicit-def: $vgpr4_vgpr5
	s_waitcnt lgkmcnt(0)
	v_add_f16_e32 v7, v10, v9
	v_sub_f16_e32 v8, v9, v10
	s_and_saveexec_b64 s[2:3], s[0:1]
	s_xor_b64 s[0:1], exec, s[2:3]
	s_cbranch_execz .LBB0_15
; %bb.14:
	v_mov_b32_e32 v3, 0
	v_lshl_add_u64 v[4:5], v[2:3], 2, s[4:5]
	global_load_dword v4, v[4:5], off offset:3560
	ds_read_u16 v5, v6 offset:3602
	ds_read_u16 v7, v16 offset:2
	v_add_f16_e32 v8, v10, v9
	v_sub_f16_e32 v9, v9, v10
	s_waitcnt lgkmcnt(0)
	v_add_f16_e32 v10, v5, v7
	v_sub_f16_e32 v5, v7, v5
	s_waitcnt vmcnt(0)
	v_lshrrev_b32_e32 v7, 16, v4
	v_fma_f16 v11, v9, v7, v8
	v_fma_f16 v12, v10, v7, v5
	v_fma_f16 v13, -v9, v7, v8
	v_fma_f16 v5, v10, v7, -v5
	v_fma_f16 v7, -v4, v10, v11
	v_fma_f16 v8, v9, v4, v12
	v_fma_f16 v10, v4, v10, v13
	;; [unrolled: 1-line block ×3, first 2 shown]
	v_pack_b32_f16 v4, v10, v4
	ds_write_b32 v6, v4 offset:3600
	v_mov_b64_e32 v[4:5], v[2:3]
.LBB0_15:
	s_andn2_saveexec_b64 s[0:1], s[0:1]
	s_cbranch_execz .LBB0_17
; %bb.16:
	ds_read_b32 v3, v14 offset:1800
	s_mov_b32 s2, 0xc0004000
	v_mov_b64_e32 v[4:5], 0
	s_waitcnt lgkmcnt(0)
	v_pk_mul_f16 v3, v3, s2
	ds_write_b32 v14, v3 offset:1800
.LBB0_17:
	s_or_b64 exec, exec, s[0:1]
	s_add_u32 s0, s4, 0xde8
	s_addc_u32 s1, s5, 0
	v_lshl_add_u64 v[4:5], v[4:5], 2, s[0:1]
	global_load_dword v3, v[4:5], off offset:360
	global_load_dword v9, v[4:5], off offset:720
	;; [unrolled: 1-line block ×4, first 2 shown]
	s_mov_b32 s7, 0x5040100
	v_perm_b32 v4, v8, v7, s7
	ds_write_b32 v16, v4
	ds_read_b32 v4, v16 offset:360
	ds_read_b32 v5, v6 offset:3240
	v_lshl_add_u32 v7, v2, 2, 0
	s_movk_i32 s0, 0x3b9c
	s_mov_b32 s1, 0xbb9c
	s_movk_i32 s3, 0x38b4
	s_waitcnt lgkmcnt(0)
	v_add_f16_e32 v8, v4, v5
	v_add_f16_sdwa v12, v5, v4 dst_sel:DWORD dst_unused:UNUSED_PAD src0_sel:WORD_1 src1_sel:WORD_1
	v_sub_f16_e32 v13, v4, v5
	v_sub_f16_sdwa v4, v4, v5 dst_sel:DWORD dst_unused:UNUSED_PAD src0_sel:WORD_1 src1_sel:WORD_1
	s_mov_b32 s6, 0xb8b4
	s_movk_i32 s2, 0x34f2
	s_movk_i32 s8, 0x3a79
	;; [unrolled: 1-line block ×3, first 2 shown]
	s_waitcnt vmcnt(3)
	v_lshrrev_b32_e32 v5, 16, v3
	v_fma_f16 v17, v13, v5, v8
	v_fma_f16 v18, v12, v5, v4
	v_fma_f16 v8, -v13, v5, v8
	v_fma_f16 v4, v12, v5, -v4
	v_fma_f16 v5, -v3, v12, v17
	v_fma_f16 v17, v13, v3, v18
	v_fma_f16 v8, v3, v12, v8
	;; [unrolled: 1-line block ×3, first 2 shown]
	v_pack_b32_f16 v4, v5, v17
	v_pack_b32_f16 v3, v8, v3
	ds_write_b32 v16, v4 offset:360
	ds_write_b32 v6, v3 offset:3240
	ds_read_b32 v3, v16 offset:720
	ds_read_b32 v4, v6 offset:2880
	s_waitcnt vmcnt(2)
	v_lshrrev_b32_e32 v5, 16, v9
	s_waitcnt lgkmcnt(0)
	v_add_f16_e32 v8, v3, v4
	v_add_f16_sdwa v12, v4, v3 dst_sel:DWORD dst_unused:UNUSED_PAD src0_sel:WORD_1 src1_sel:WORD_1
	v_sub_f16_e32 v13, v3, v4
	v_sub_f16_sdwa v3, v3, v4 dst_sel:DWORD dst_unused:UNUSED_PAD src0_sel:WORD_1 src1_sel:WORD_1
	v_fma_f16 v4, v13, v5, v8
	v_fma_f16 v17, v12, v5, v3
	v_fma_f16 v8, -v13, v5, v8
	v_fma_f16 v3, v12, v5, -v3
	v_fma_f16 v4, -v9, v12, v4
	v_fma_f16 v5, v13, v9, v17
	v_fma_f16 v8, v9, v12, v8
	;; [unrolled: 1-line block ×3, first 2 shown]
	v_pack_b32_f16 v4, v4, v5
	v_pack_b32_f16 v3, v8, v3
	ds_write_b32 v16, v4 offset:720
	ds_write_b32 v6, v3 offset:2880
	ds_read_b32 v4, v16 offset:1080
	ds_read_b32 v5, v6 offset:2520
	v_add_u32_e32 v3, v7, v15
	v_mad_u32_u24 v17, v2, 36, v7
	s_waitcnt vmcnt(1)
	v_lshrrev_b32_e32 v7, 16, v10
	v_add_u32_e32 v24, 0x400, v3
	s_waitcnt lgkmcnt(0)
	v_add_f16_e32 v8, v4, v5
	v_add_f16_sdwa v9, v5, v4 dst_sel:DWORD dst_unused:UNUSED_PAD src0_sel:WORD_1 src1_sel:WORD_1
	v_sub_f16_e32 v12, v4, v5
	v_sub_f16_sdwa v4, v4, v5 dst_sel:DWORD dst_unused:UNUSED_PAD src0_sel:WORD_1 src1_sel:WORD_1
	v_fma_f16 v5, v12, v7, v8
	v_fma_f16 v13, v9, v7, v4
	v_fma_f16 v8, -v12, v7, v8
	v_fma_f16 v4, v9, v7, -v4
	v_fma_f16 v5, -v10, v9, v5
	v_fma_f16 v7, v12, v10, v13
	v_fma_f16 v8, v10, v9, v8
	v_fma_f16 v4, v12, v10, v4
	v_pack_b32_f16 v5, v5, v7
	v_pack_b32_f16 v4, v8, v4
	ds_write_b32 v16, v5 offset:1080
	ds_write_b32 v6, v4 offset:2520
	ds_read_b32 v4, v16 offset:1440
	ds_read_b32 v5, v6 offset:2160
	s_waitcnt vmcnt(0)
	v_lshrrev_b32_e32 v7, 16, v11
	v_add_u32_e32 v25, 0x600, v3
	v_add_u32_e32 v18, 0x800, v3
	s_waitcnt lgkmcnt(0)
	v_add_f16_e32 v8, v4, v5
	v_add_f16_sdwa v9, v5, v4 dst_sel:DWORD dst_unused:UNUSED_PAD src0_sel:WORD_1 src1_sel:WORD_1
	v_sub_f16_e32 v10, v4, v5
	v_sub_f16_sdwa v4, v4, v5 dst_sel:DWORD dst_unused:UNUSED_PAD src0_sel:WORD_1 src1_sel:WORD_1
	v_fma_f16 v5, v10, v7, v8
	v_fma_f16 v12, v9, v7, v4
	v_fma_f16 v8, -v10, v7, v8
	v_fma_f16 v4, v9, v7, -v4
	v_fma_f16 v5, -v11, v9, v5
	v_fma_f16 v7, v10, v11, v12
	v_fma_f16 v8, v11, v9, v8
	;; [unrolled: 1-line block ×3, first 2 shown]
	v_pack_b32_f16 v5, v5, v7
	v_pack_b32_f16 v4, v8, v4
	ds_write_b32 v16, v5 offset:1440
	ds_write_b32 v6, v4 offset:2160
	s_waitcnt lgkmcnt(0)
	s_barrier
	s_barrier
	ds_read2_b32 v[4:5], v3 offset0:90 offset1:180
	ds_read2_b32 v[6:7], v24 offset0:14 offset1:104
	;; [unrolled: 1-line block ×4, first 2 shown]
	ds_read_b32 v13, v16
	ds_read_b32 v19, v3 offset:3240
	v_add_u32_e32 v12, v17, v15
	s_waitcnt lgkmcnt(4)
	v_sub_f16_e32 v26, v5, v7
	s_waitcnt lgkmcnt(3)
	v_add_f16_e32 v20, v7, v9
	s_waitcnt lgkmcnt(2)
	v_sub_f16_sdwa v21, v5, v11 dst_sel:DWORD dst_unused:UNUSED_PAD src0_sel:WORD_1 src1_sel:WORD_1
	v_sub_f16_e32 v23, v11, v9
	v_add_f16_e32 v27, v5, v11
	s_waitcnt lgkmcnt(1)
	v_fma_f16 v20, v20, -0.5, v13
	v_sub_f16_sdwa v22, v7, v9 dst_sel:DWORD dst_unused:UNUSED_PAD src0_sel:WORD_1 src1_sel:WORD_1
	v_add_f16_e32 v23, v26, v23
	v_fma_f16 v26, v27, -0.5, v13
	v_fma_f16 v27, v21, s0, v20
	v_fma_f16 v20, v21, s1, v20
	;; [unrolled: 1-line block ×7, first 2 shown]
	v_sub_f16_e32 v23, v9, v11
	v_sub_f16_e32 v29, v7, v5
	v_fma_f16 v22, v22, s0, v26
	v_fma_f16 v28, v21, s3, v28
	v_add_f16_e32 v23, v29, v23
	v_fma_f16 v21, v21, s6, v22
	v_fma_f16 v28, v23, s2, v28
	v_fma_f16 v21, v23, s2, v21
	v_pk_add_f16 v22, v13, v5
	v_add_f16_sdwa v23, v7, v9 dst_sel:DWORD dst_unused:UNUSED_PAD src0_sel:WORD_1 src1_sel:WORD_1
	v_lshrrev_b32_e32 v13, 16, v13
	v_fma_f16 v23, v23, -0.5, v13
	v_sub_f16_e32 v26, v5, v11
	v_fma_f16 v29, v26, s1, v23
	v_sub_f16_e32 v30, v7, v9
	v_sub_f16_sdwa v31, v5, v7 dst_sel:DWORD dst_unused:UNUSED_PAD src0_sel:WORD_1 src1_sel:WORD_1
	v_sub_f16_sdwa v32, v11, v9 dst_sel:DWORD dst_unused:UNUSED_PAD src0_sel:WORD_1 src1_sel:WORD_1
	v_fma_f16 v23, v26, s0, v23
	v_fma_f16 v29, v30, s6, v29
	v_add_f16_e32 v31, v31, v32
	v_fma_f16 v23, v30, s3, v23
	v_fma_f16 v29, v31, s2, v29
	;; [unrolled: 1-line block ×3, first 2 shown]
	v_add_f16_sdwa v31, v5, v11 dst_sel:DWORD dst_unused:UNUSED_PAD src0_sel:WORD_1 src1_sel:WORD_1
	v_pk_add_f16 v22, v22, v7
	v_fma_f16 v13, v31, -0.5, v13
	v_pk_add_f16 v22, v22, v9
	v_fma_f16 v31, v30, s0, v13
	v_sub_f16_sdwa v5, v7, v5 dst_sel:DWORD dst_unused:UNUSED_PAD src0_sel:WORD_1 src1_sel:WORD_1
	v_sub_f16_sdwa v7, v9, v11 dst_sel:DWORD dst_unused:UNUSED_PAD src0_sel:WORD_1 src1_sel:WORD_1
	v_fma_f16 v9, v30, s1, v13
	v_fma_f16 v31, v26, s6, v31
	v_add_f16_e32 v5, v5, v7
	v_fma_f16 v9, v26, s3, v9
	v_fma_f16 v7, v5, s2, v31
	;; [unrolled: 1-line block ×3, first 2 shown]
	v_add_f16_e32 v9, v8, v10
	v_pk_add_f16 v22, v22, v11
	v_fma_f16 v9, v9, -0.5, v4
	s_waitcnt lgkmcnt(0)
	v_sub_f16_sdwa v11, v6, v19 dst_sel:DWORD dst_unused:UNUSED_PAD src0_sel:WORD_1 src1_sel:WORD_1
	v_fma_f16 v13, v11, s0, v9
	v_sub_f16_sdwa v26, v8, v10 dst_sel:DWORD dst_unused:UNUSED_PAD src0_sel:WORD_1 src1_sel:WORD_1
	v_sub_f16_e32 v30, v19, v10
	v_sub_f16_e32 v31, v6, v8
	v_fma_f16 v9, v11, s1, v9
	v_fma_f16 v13, v26, s3, v13
	v_add_f16_e32 v30, v31, v30
	v_fma_f16 v9, v26, s6, v9
	v_fma_f16 v13, v30, s2, v13
	;; [unrolled: 1-line block ×3, first 2 shown]
	v_add_f16_e32 v30, v6, v19
	v_fma_f16 v30, v30, -0.5, v4
	v_fma_f16 v31, v26, s1, v30
	v_sub_f16_e32 v32, v10, v19
	v_sub_f16_e32 v33, v8, v6
	v_fma_f16 v26, v26, s0, v30
	v_fma_f16 v31, v11, s3, v31
	v_add_f16_e32 v32, v33, v32
	v_fma_f16 v11, v11, s6, v26
	v_pk_add_f16 v26, v4, v6
	v_add_f16_sdwa v30, v8, v10 dst_sel:DWORD dst_unused:UNUSED_PAD src0_sel:WORD_1 src1_sel:WORD_1
	v_lshrrev_b32_e32 v4, 16, v4
	v_fma_f16 v31, v32, s2, v31
	v_fma_f16 v11, v32, s2, v11
	v_fma_f16 v30, v30, -0.5, v4
	v_sub_f16_e32 v32, v6, v19
	v_fma_f16 v33, v32, s1, v30
	v_sub_f16_e32 v34, v8, v10
	v_sub_f16_sdwa v35, v6, v8 dst_sel:DWORD dst_unused:UNUSED_PAD src0_sel:WORD_1 src1_sel:WORD_1
	v_sub_f16_sdwa v36, v19, v10 dst_sel:DWORD dst_unused:UNUSED_PAD src0_sel:WORD_1 src1_sel:WORD_1
	v_fma_f16 v30, v32, s0, v30
	v_fma_f16 v33, v34, s6, v33
	v_add_f16_e32 v35, v35, v36
	v_fma_f16 v30, v34, s3, v30
	v_fma_f16 v33, v35, s2, v33
	;; [unrolled: 1-line block ×3, first 2 shown]
	v_add_f16_sdwa v35, v6, v19 dst_sel:DWORD dst_unused:UNUSED_PAD src0_sel:WORD_1 src1_sel:WORD_1
	v_fma_f16 v4, v35, -0.5, v4
	v_pk_add_f16 v26, v26, v8
	v_fma_f16 v35, v34, s0, v4
	v_sub_f16_sdwa v6, v8, v6 dst_sel:DWORD dst_unused:UNUSED_PAD src0_sel:WORD_1 src1_sel:WORD_1
	v_sub_f16_sdwa v8, v10, v19 dst_sel:DWORD dst_unused:UNUSED_PAD src0_sel:WORD_1 src1_sel:WORD_1
	v_fma_f16 v4, v34, s1, v4
	v_fma_f16 v35, v32, s6, v35
	v_add_f16_e32 v6, v6, v8
	v_fma_f16 v4, v32, s3, v4
	v_pk_add_f16 v26, v26, v10
	v_fma_f16 v8, v6, s2, v35
	v_fma_f16 v4, v6, s2, v4
	v_mul_f16_e32 v34, 0x34f2, v11
	v_mul_f16_e32 v36, 0x3a79, v9
	v_pk_add_f16 v26, v26, v19
	v_mul_f16_e32 v6, 0x3a79, v13
	v_mul_f16_e32 v19, 0x3b9c, v8
	v_fma_f16 v34, v4, s0, -v34
	v_fma_f16 v36, v30, s3, -v36
	v_mul_f16_e32 v13, 0xb8b4, v13
	v_mul_f16_e32 v4, 0x34f2, v4
	;; [unrolled: 1-line block ×3, first 2 shown]
	v_fma_f16 v6, v33, s3, v6
	v_fma_f16 v19, v31, s2, v19
	;; [unrolled: 1-line block ×3, first 2 shown]
	v_mul_f16_e32 v31, 0xbb9c, v31
	v_fma_f16 v4, v11, s1, -v4
	v_fma_f16 v9, v9, s6, -v30
	v_add_f16_e32 v10, v27, v6
	v_add_f16_e32 v35, v21, v34
	;; [unrolled: 1-line block ×4, first 2 shown]
	v_fma_f16 v8, v8, s2, v31
	v_add_f16_e32 v11, v5, v4
	v_sub_f16_e32 v21, v21, v34
	v_sub_f16_e32 v20, v20, v36
	;; [unrolled: 1-line block ×4, first 2 shown]
	v_add_f16_e32 v32, v28, v19
	v_pk_add_f16 v38, v22, v26
	v_add_f16_e32 v31, v7, v8
	v_sub_f16_e32 v7, v7, v8
	v_pack_b32_f16 v8, v10, v33
	v_pack_b32_f16 v5, v20, v5
	;; [unrolled: 1-line block ×3, first 2 shown]
	v_add_f16_e32 v30, v23, v9
	s_barrier
	ds_write2_b32 v12, v38, v8 offset1:1
	v_pack_b32_f16 v8, v35, v11
	v_pack_b32_f16 v9, v32, v31
	ds_write2_b32 v12, v4, v5 offset0:8 offset1:9
	v_mul_lo_u16_sdwa v4, v2, s9 dst_sel:DWORD dst_unused:UNUSED_PAD src0_sel:BYTE_0 src1_sel:DWORD
	ds_write2_b32 v12, v9, v8 offset0:2 offset1:3
	v_pk_add_f16 v8, v22, v26 neg_lo:[0,1] neg_hi:[0,1]
	v_lshrrev_b16_e32 v26, 11, v4
	v_mul_lo_u16_e32 v4, 10, v26
	v_sub_f16_e32 v6, v27, v6
	v_sub_f16_e32 v19, v28, v19
	;; [unrolled: 1-line block ×3, first 2 shown]
	v_sub_u16_e32 v27, v2, v4
	v_mov_b32_e32 v4, 9
	v_pack_b32_f16 v9, v37, v30
	v_pack_b32_f16 v6, v6, v13
	;; [unrolled: 1-line block ×3, first 2 shown]
	v_mul_u32_u24_sdwa v4, v27, v4 dst_sel:DWORD dst_unused:UNUSED_PAD src0_sel:BYTE_0 src1_sel:DWORD
	ds_write2_b32 v12, v9, v8 offset0:4 offset1:5
	ds_write2_b32 v12, v6, v7 offset0:6 offset1:7
	v_lshlrev_b32_e32 v12, 2, v4
	s_waitcnt lgkmcnt(0)
	s_barrier
	global_load_dwordx4 v[4:7], v12, s[4:5]
	global_load_dwordx4 v[8:11], v12, s[4:5] offset:16
	global_load_dword v28, v12, s[4:5] offset:32
	ds_read_b32 v29, v16
	ds_read2_b32 v[12:13], v25 offset0:66 offset1:156
	ds_read2_b32 v[18:19], v18 offset0:118 offset1:208
	ds_read_b32 v30, v3 offset:3240
	ds_read2_b32 v[20:21], v3 offset0:90 offset1:180
	ds_read2_b32 v[22:23], v24 offset0:14 offset1:104
	s_mov_b32 s9, 0x7060302
	s_waitcnt lgkmcnt(4)
	v_lshrrev_b32_e32 v32, 16, v13
	s_waitcnt lgkmcnt(3)
	v_lshrrev_b32_e32 v33, 16, v18
	v_lshrrev_b32_e32 v34, 16, v19
	s_waitcnt lgkmcnt(2)
	v_lshrrev_b32_e32 v35, 16, v30
	v_lshrrev_b32_e32 v31, 16, v29
	s_waitcnt lgkmcnt(0)
	s_barrier
	s_waitcnt vmcnt(2)
	v_pk_mul_f16 v36, v4, v20
	v_mul_f16_sdwa v37, v4, v20 dst_sel:DWORD dst_unused:UNUSED_PAD src0_sel:DWORD src1_sel:WORD_1
	v_lshrrev_b32_e32 v4, 16, v4
	v_mul_f16_sdwa v38, v5, v21 dst_sel:DWORD dst_unused:UNUSED_PAD src0_sel:WORD_1 src1_sel:WORD_1
	v_fma_f16 v4, v4, v20, v37
	v_perm_b32 v20, v23, v21, s7
	v_perm_b32 v37, v23, v21, s9
	v_fma_f16 v21, v5, v21, -v38
	v_mul_f16_sdwa v38, v7, v23 dst_sel:DWORD dst_unused:UNUSED_PAD src0_sel:WORD_1 src1_sel:WORD_1
	v_fma_f16 v23, v7, v23, -v38
	v_perm_b32 v38, v7, v5, s7
	v_perm_b32 v5, v7, v5, s9
	v_pk_mul_f16 v5, v5, v20
	v_lshrrev_b32_e32 v7, 16, v22
	v_pk_fma_f16 v5, v38, v37, v5
	v_lshrrev_b32_e32 v20, 16, v12
	v_perm_b32 v37, v12, v22, s9
	v_perm_b32 v38, v12, v22, s7
	v_mul_f16_sdwa v22, v6, v22 dst_sel:DWORD dst_unused:UNUSED_PAD src0_sel:WORD_1 src1_sel:DWORD
	s_waitcnt vmcnt(1)
	v_mul_f16_sdwa v12, v8, v12 dst_sel:DWORD dst_unused:UNUSED_PAD src0_sel:WORD_1 src1_sel:DWORD
	v_fma_f16 v7, v6, v7, v22
	v_perm_b32 v22, v8, v6, s7
	v_perm_b32 v6, v8, v6, s9
	v_fma_f16 v8, v8, v20, v12
	v_mul_f16_sdwa v12, v32, v9 dst_sel:DWORD dst_unused:UNUSED_PAD src0_sel:DWORD src1_sel:WORD_1
	v_fma_f16 v12, v13, v9, -v12
	v_mul_f16_sdwa v13, v13, v9 dst_sel:DWORD dst_unused:UNUSED_PAD src0_sel:DWORD src1_sel:WORD_1
	v_fma_f16 v9, v32, v9, v13
	v_mul_f16_sdwa v13, v33, v10 dst_sel:DWORD dst_unused:UNUSED_PAD src0_sel:DWORD src1_sel:WORD_1
	v_fma_f16 v13, v18, v10, -v13
	v_mul_f16_sdwa v18, v18, v10 dst_sel:DWORD dst_unused:UNUSED_PAD src0_sel:DWORD src1_sel:WORD_1
	;; [unrolled: 4-line block ×3, first 2 shown]
	v_fma_f16 v11, v34, v11, v19
	s_waitcnt vmcnt(0)
	v_mul_f16_sdwa v19, v35, v28 dst_sel:DWORD dst_unused:UNUSED_PAD src0_sel:DWORD src1_sel:WORD_1
	v_mul_f16_sdwa v20, v30, v28 dst_sel:DWORD dst_unused:UNUSED_PAD src0_sel:DWORD src1_sel:WORD_1
	v_fma_f16 v19, v30, v28, -v19
	v_fma_f16 v20, v35, v28, v20
	v_add_f16_e32 v28, v23, v12
	v_fma_f16 v28, v28, -0.5, v29
	v_sub_f16_e32 v30, v5, v11
	v_fma_f16 v32, v30, s0, v28
	v_sub_f16_sdwa v33, v5, v9 dst_sel:DWORD dst_unused:UNUSED_PAD src0_sel:WORD_1 src1_sel:DWORD
	v_sub_f16_e32 v34, v21, v23
	v_sub_f16_e32 v35, v18, v12
	v_fma_f16 v28, v30, s1, v28
	v_pk_mul_f16 v6, v6, v37
	v_fma_f16 v32, v33, s3, v32
	v_add_f16_e32 v34, v34, v35
	v_fma_f16 v28, v33, s6, v28
	v_pk_fma_f16 v6, v22, v38, v6 neg_lo:[0,0,1] neg_hi:[0,0,1]
	v_add_f16_e32 v22, v29, v21
	v_fma_f16 v32, v34, s2, v32
	v_fma_f16 v28, v34, s2, v28
	v_add_f16_e32 v34, v21, v18
	v_add_f16_e32 v22, v22, v23
	v_fma_f16 v29, v34, -0.5, v29
	v_add_f16_e32 v22, v22, v12
	v_fma_f16 v34, v33, s1, v29
	v_sub_f16_e32 v35, v23, v21
	v_sub_f16_e32 v37, v12, v18
	v_fma_f16 v29, v33, s0, v29
	v_add_f16_sdwa v33, v5, v9 dst_sel:DWORD dst_unused:UNUSED_PAD src0_sel:WORD_1 src1_sel:DWORD
	v_add_f16_e32 v22, v22, v18
	v_fma_f16 v34, v30, s3, v34
	v_add_f16_e32 v35, v35, v37
	v_fma_f16 v29, v30, s6, v29
	v_fma_f16 v33, v33, -0.5, v31
	v_sub_f16_e32 v18, v21, v18
	v_fma_f16 v34, v35, s2, v34
	v_fma_f16 v29, v35, s2, v29
	;; [unrolled: 1-line block ×3, first 2 shown]
	v_sub_f16_e32 v12, v23, v12
	v_sub_f16_sdwa v23, v5, v5 dst_sel:DWORD dst_unused:UNUSED_PAD src0_sel:DWORD src1_sel:WORD_1
	v_sub_f16_e32 v35, v11, v9
	v_fma_f16 v33, v18, s0, v33
	v_add_f16_e32 v30, v31, v5
	v_fma_f16 v21, v12, s6, v21
	v_add_f16_e32 v23, v23, v35
	v_fma_f16 v33, v12, s3, v33
	v_add_f16_sdwa v30, v30, v5 dst_sel:DWORD dst_unused:UNUSED_PAD src0_sel:DWORD src1_sel:WORD_1
	v_fma_f16 v21, v23, s2, v21
	v_fma_f16 v23, v23, s2, v33
	v_add_f16_e32 v33, v5, v11
	v_add_f16_e32 v30, v30, v9
	v_fma_f16 v31, v33, -0.5, v31
	v_sub_f16_sdwa v36, v36, v36 dst_sel:DWORD dst_unused:UNUSED_PAD src0_sel:DWORD src1_sel:WORD_1
	v_add_f16_e32 v30, v30, v11
	v_fma_f16 v33, v12, s0, v31
	v_sub_f16_sdwa v5, v5, v5 dst_sel:DWORD dst_unused:UNUSED_PAD src0_sel:WORD_1 src1_sel:DWORD
	v_sub_f16_e32 v9, v9, v11
	v_fma_f16 v11, v12, s1, v31
	v_add_f16_sdwa v12, v6, v13 dst_sel:DWORD dst_unused:UNUSED_PAD src0_sel:WORD_1 src1_sel:DWORD
	v_fma_f16 v33, v18, s6, v33
	v_add_f16_e32 v5, v5, v9
	v_fma_f16 v11, v18, s3, v11
	v_fma_f16 v12, v12, -0.5, v36
	v_sub_f16_e32 v18, v7, v20
	v_fma_f16 v9, v5, s2, v33
	v_fma_f16 v31, v18, s0, v12
	v_sub_f16_e32 v33, v8, v10
	v_sub_f16_sdwa v35, v6, v6 dst_sel:DWORD dst_unused:UNUSED_PAD src0_sel:DWORD src1_sel:WORD_1
	v_sub_f16_e32 v37, v19, v13
	v_fma_f16 v12, v18, s1, v12
	v_fma_f16 v31, v33, s3, v31
	v_add_f16_e32 v35, v35, v37
	v_fma_f16 v12, v33, s6, v12
	v_fma_f16 v5, v5, s2, v11
	v_add_f16_e32 v11, v36, v6
	;; [unrolled: 3-line block ×3, first 2 shown]
	v_add_f16_sdwa v11, v11, v6 dst_sel:DWORD dst_unused:UNUSED_PAD src0_sel:DWORD src1_sel:WORD_1
	v_fma_f16 v35, v35, -0.5, v36
	v_add_f16_e32 v11, v11, v13
	v_fma_f16 v36, v33, s1, v35
	v_sub_f16_sdwa v37, v6, v6 dst_sel:DWORD dst_unused:UNUSED_PAD src0_sel:WORD_1 src1_sel:DWORD
	v_sub_f16_e32 v38, v13, v19
	v_fma_f16 v33, v33, s0, v35
	v_add_f16_e32 v35, v8, v10
	v_add_f16_e32 v11, v11, v19
	v_fma_f16 v36, v18, s3, v36
	v_add_f16_e32 v37, v37, v38
	v_fma_f16 v18, v18, s6, v33
	v_fma_f16 v35, v35, -0.5, v4
	v_sub_f16_e32 v19, v6, v19
	v_fma_f16 v36, v37, s2, v36
	v_fma_f16 v18, v37, s2, v18
	;; [unrolled: 1-line block ×3, first 2 shown]
	v_sub_f16_sdwa v6, v6, v13 dst_sel:DWORD dst_unused:UNUSED_PAD src0_sel:WORD_1 src1_sel:DWORD
	v_fma_f16 v13, v6, s6, v37
	v_sub_f16_e32 v37, v7, v8
	v_sub_f16_e32 v38, v20, v10
	v_fma_f16 v35, v19, s0, v35
	v_add_f16_e32 v37, v37, v38
	v_fma_f16 v35, v6, s3, v35
	v_fma_f16 v13, v37, s2, v13
	;; [unrolled: 1-line block ×3, first 2 shown]
	v_add_f16_e32 v37, v7, v20
	v_add_f16_e32 v33, v4, v7
	v_fma_f16 v4, v37, -0.5, v4
	v_add_f16_e32 v33, v33, v8
	v_fma_f16 v37, v6, s0, v4
	v_sub_f16_e32 v7, v8, v7
	v_sub_f16_e32 v8, v10, v20
	v_fma_f16 v37, v19, s6, v37
	v_add_f16_e32 v7, v7, v8
	v_fma_f16 v8, v7, s2, v37
	v_fma_f16 v4, v6, s1, v4
	v_add_f16_e32 v33, v33, v10
	v_fma_f16 v4, v19, s3, v4
	v_mul_f16_e32 v19, 0x3b9c, v8
	v_add_f16_e32 v33, v33, v20
	v_fma_f16 v4, v7, s2, v4
	v_mul_f16_e32 v7, 0x38b4, v13
	v_fma_f16 v19, v36, s2, v19
	v_mul_f16_e32 v20, 0x34f2, v18
	v_mul_f16_e32 v36, 0xbb9c, v36
	v_fma_f16 v7, v31, s8, v7
	v_fma_f16 v20, v4, s0, -v20
	v_mul_f16_e32 v31, 0xb8b4, v31
	v_fma_f16 v8, v8, s2, v36
	v_mul_f16_e32 v4, 0x34f2, v4
	v_mul_f16_e32 v39, 0x3a79, v12
	v_fma_f16 v13, v13, s8, v31
	v_add_f16_e32 v36, v9, v8
	v_fma_f16 v4, v18, s1, -v4
	v_sub_f16_e32 v8, v9, v8
	s_movk_i32 s0, 0x190
	v_mov_b32_e32 v9, 2
	v_add_f16_e32 v6, v22, v11
	v_add_f16_e32 v10, v32, v7
	v_fma_f16 v39, v35, s3, -v39
	v_add_f16_e32 v41, v30, v33
	v_add_f16_e32 v31, v21, v13
	;; [unrolled: 1-line block ×3, first 2 shown]
	v_mul_f16_e32 v35, 0x3a79, v35
	v_sub_f16_e32 v4, v5, v4
	v_mad_u32_u24 v5, v26, s0, 0
	v_lshlrev_b32_sdwa v9, v9, v27 dst_sel:DWORD dst_unused:UNUSED_PAD src0_sel:DWORD src1_sel:BYTE_0
	v_add_f16_e32 v37, v34, v19
	v_add_f16_e32 v38, v29, v20
	v_fma_f16 v12, v12, s6, -v35
	v_add3_u32 v5, v5, v9, v15
	v_pack_b32_f16 v6, v6, v41
	v_pack_b32_f16 v9, v10, v31
	v_add_f16_e32 v40, v28, v39
	v_add_f16_e32 v35, v23, v12
	v_sub_f16_e32 v11, v22, v11
	v_sub_f16_e32 v22, v29, v20
	;; [unrolled: 1-line block ×4, first 2 shown]
	ds_write2_b32 v5, v6, v9 offset1:10
	v_pack_b32_f16 v6, v37, v36
	v_pack_b32_f16 v9, v38, v18
	v_sub_f16_e32 v7, v32, v7
	v_sub_f16_e32 v19, v34, v19
	;; [unrolled: 1-line block ×3, first 2 shown]
	ds_write2_b32 v5, v6, v9 offset0:20 offset1:30
	v_pack_b32_f16 v6, v40, v35
	v_pack_b32_f16 v9, v11, v28
	v_sub_f16_e32 v23, v23, v12
	ds_write2_b32 v5, v6, v9 offset0:40 offset1:50
	v_pack_b32_f16 v6, v7, v13
	v_pack_b32_f16 v7, v19, v8
	ds_write2_b32 v5, v6, v7 offset0:60 offset1:70
	v_pack_b32_f16 v4, v22, v4
	v_pack_b32_f16 v6, v20, v23
	ds_write2_b32 v5, v4, v6 offset0:80 offset1:90
	s_waitcnt lgkmcnt(0)
	s_barrier
	ds_read_b32 v22, v16
	ds_read2_b32 v[12:13], v24 offset0:44 offset1:134
	ds_read2_b32 v[8:9], v25 offset0:96 offset1:216
	;; [unrolled: 1-line block ×3, first 2 shown]
	v_add_u32_e32 v4, 0xa00, v3
	ds_read2_b32 v[10:11], v4 offset0:50 offset1:140
	v_cmp_gt_u32_e64 s[0:1], 30, v2
                                        ; implicit-def: $vgpr21
                                        ; implicit-def: $vgpr19
                                        ; implicit-def: $vgpr24
	s_and_saveexec_b64 s[2:3], s[0:1]
	s_cbranch_execz .LBB0_19
; %bb.18:
	ds_read_b32 v20, v3 offset:1080
	ds_read_b32 v19, v3 offset:3480
	;; [unrolled: 1-line block ×3, first 2 shown]
	s_waitcnt lgkmcnt(2)
	v_lshrrev_b32_e32 v23, 16, v20
	s_waitcnt lgkmcnt(1)
	v_lshrrev_b32_e32 v21, 16, v19
	s_waitcnt lgkmcnt(0)
	v_alignbit_b32 v24, v4, v4, 16
.LBB0_19:
	s_or_b64 exec, exec, s[2:3]
	v_add_u32_e32 v25, 0x5a, v2
	v_add_u32_e32 v18, -10, v2
	v_cmp_gt_u32_e64 s[2:3], 10, v2
	v_lshlrev_b32_e32 v26, 1, v2
	v_mov_b32_e32 v27, 0
	v_cndmask_b32_e64 v36, v18, v25, s[2:3]
	v_lshl_add_u64 v[4:5], v[26:27], 2, s[4:5]
	v_lshlrev_b32_e32 v26, 1, v36
	v_lshl_add_u64 v[26:27], v[26:27], 2, s[4:5]
	global_load_dwordx2 v[28:29], v[4:5], off offset:360
	global_load_dwordx2 v[30:31], v[26:27], off offset:360
	v_add_u32_e32 v26, 0xb4, v2
	v_add_u32_e32 v18, 0x10e, v2
	v_lshrrev_b16_e32 v27, 2, v26
	v_lshrrev_b16_e32 v32, 2, v18
	v_mul_u32_u24_e32 v27, 0x147b, v27
	v_mul_u32_u24_e32 v32, 0x147b, v32
	v_lshrrev_b32_e32 v37, 17, v27
	v_lshrrev_b32_e32 v27, 17, v32
	v_mul_lo_u16_e32 v32, 0x64, v37
	v_mul_lo_u16_e32 v27, 0x64, v27
	v_sub_u16_e32 v38, v26, v32
	v_sub_u16_e32 v27, v18, v27
	v_lshlrev_b32_e32 v32, 3, v38
	v_lshlrev_b32_e32 v34, 3, v27
	global_load_dwordx2 v[32:33], v32, s[4:5] offset:360
	s_waitcnt lgkmcnt(3)
	v_lshrrev_b32_e32 v42, 16, v12
	global_load_dwordx2 v[34:35], v34, s[4:5] offset:360
	s_waitcnt lgkmcnt(2)
	v_lshrrev_b32_e32 v43, 16, v9
	v_lshrrev_b32_e32 v39, 16, v22
	;; [unrolled: 1-line block ×3, first 2 shown]
	s_waitcnt lgkmcnt(0)
	v_lshrrev_b32_e32 v45, 16, v10
	v_lshrrev_b32_e32 v47, 16, v11
	s_movk_i32 s2, 0x3aee
	s_mov_b32 s3, 0xbaee
	v_lshrrev_b32_e32 v46, 16, v8
	v_lshrrev_b32_e32 v48, 16, v24
	;; [unrolled: 1-line block ×4, first 2 shown]
	s_barrier
	s_movk_i32 s6, 0x4b0
	s_waitcnt vmcnt(3)
	v_mul_f16_sdwa v49, v28, v42 dst_sel:DWORD dst_unused:UNUSED_PAD src0_sel:WORD_1 src1_sel:DWORD
	v_mul_f16_sdwa v50, v28, v12 dst_sel:DWORD dst_unused:UNUSED_PAD src0_sel:WORD_1 src1_sel:DWORD
	;; [unrolled: 1-line block ×4, first 2 shown]
	v_fma_f16 v12, v28, v12, -v49
	v_fma_f16 v28, v28, v42, v50
	v_fma_f16 v9, v29, v9, -v51
	v_fma_f16 v29, v29, v43, v52
	s_waitcnt vmcnt(2)
	v_mul_f16_sdwa v42, v30, v44 dst_sel:DWORD dst_unused:UNUSED_PAD src0_sel:WORD_1 src1_sel:DWORD
	v_mul_f16_sdwa v49, v31, v45 dst_sel:DWORD dst_unused:UNUSED_PAD src0_sel:WORD_1 src1_sel:DWORD
	v_add_f16_e32 v52, v12, v9
	v_sub_f16_e32 v53, v28, v29
	v_add_f16_e32 v54, v39, v28
	v_add_f16_e32 v28, v28, v29
	v_mul_f16_sdwa v43, v30, v13 dst_sel:DWORD dst_unused:UNUSED_PAD src0_sel:WORD_1 src1_sel:DWORD
	v_mul_f16_sdwa v50, v31, v10 dst_sel:DWORD dst_unused:UNUSED_PAD src0_sel:WORD_1 src1_sel:DWORD
	v_add_f16_e32 v51, v22, v12
	v_sub_f16_e32 v12, v12, v9
	v_fma_f16 v13, v30, v13, -v42
	v_fma_f16 v10, v31, v10, -v49
	v_fma_f16 v22, v52, -0.5, v22
	v_fma_f16 v28, v28, -0.5, v39
	v_fma_f16 v30, v30, v44, v43
	v_fma_f16 v31, v31, v45, v50
	;; [unrolled: 1-line block ×6, first 2 shown]
	v_add_f16_e32 v28, v13, v10
	s_waitcnt vmcnt(1)
	v_mul_f16_sdwa v49, v33, v47 dst_sel:DWORD dst_unused:UNUSED_PAD src0_sel:WORD_1 src1_sel:DWORD
	v_mul_f16_sdwa v50, v33, v11 dst_sel:DWORD dst_unused:UNUSED_PAD src0_sel:WORD_1 src1_sel:DWORD
	s_waitcnt vmcnt(0)
	v_mul_f16_sdwa v53, v21, v35 dst_sel:DWORD dst_unused:UNUSED_PAD src0_sel:DWORD src1_sel:WORD_1
	v_add_f16_e32 v9, v51, v9
	v_add_f16_e32 v29, v54, v29
	;; [unrolled: 1-line block ×3, first 2 shown]
	v_mul_f16_sdwa v44, v32, v46 dst_sel:DWORD dst_unused:UNUSED_PAD src0_sel:WORD_1 src1_sel:DWORD
	v_mul_f16_sdwa v45, v32, v8 dst_sel:DWORD dst_unused:UNUSED_PAD src0_sel:WORD_1 src1_sel:DWORD
	v_mul_f16_sdwa v51, v24, v34 dst_sel:DWORD dst_unused:UNUSED_PAD src0_sel:DWORD src1_sel:WORD_1
	v_mul_f16_sdwa v52, v48, v34 dst_sel:DWORD dst_unused:UNUSED_PAD src0_sel:DWORD src1_sel:WORD_1
	;; [unrolled: 1-line block ×3, first 2 shown]
	v_fma_f16 v6, v28, -0.5, v6
	v_fma_f16 v11, v33, v11, -v49
	v_fma_f16 v28, v33, v47, v50
	v_fma_f16 v33, v19, v35, -v53
	v_sub_f16_e32 v19, v30, v31
	v_add_f16_e32 v55, v22, v10
	v_fma_f16 v8, v32, v8, -v44
	v_fma_f16 v22, v32, v46, v45
	v_fma_f16 v32, v48, v34, -v51
	v_fma_f16 v24, v24, v34, v52
	v_fma_f16 v34, v21, v35, v54
	;; [unrolled: 1-line block ×4, first 2 shown]
	v_add_f16_e32 v19, v40, v30
	v_add_f16_e32 v44, v19, v31
	;; [unrolled: 1-line block ×3, first 2 shown]
	v_fma_f16 v19, v19, -0.5, v40
	v_sub_f16_e32 v10, v13, v10
	v_fma_f16 v13, v10, s3, v19
	v_fma_f16 v10, v10, s2, v19
	v_add_f16_e32 v19, v7, v8
	v_add_f16_e32 v30, v19, v11
	;; [unrolled: 1-line block ×3, first 2 shown]
	v_fma_f16 v7, v19, -0.5, v7
	v_sub_f16_e32 v19, v22, v28
	v_fma_f16 v31, v19, s2, v7
	v_fma_f16 v7, v19, s3, v7
	v_add_f16_e32 v19, v41, v22
	v_add_f16_e32 v40, v19, v28
	;; [unrolled: 1-line block ×3, first 2 shown]
	v_fma_f16 v19, v19, -0.5, v41
	v_sub_f16_e32 v8, v8, v11
	v_add_f16_e32 v21, v32, v33
	v_fma_f16 v11, v8, s3, v19
	v_fma_f16 v8, v8, s2, v19
	v_add_f16_e32 v19, v20, v32
	v_fma_f16 v20, v21, -0.5, v20
	v_sub_f16_e32 v21, v24, v34
	v_fma_f16 v22, v21, s2, v20
	v_fma_f16 v21, v21, s3, v20
	v_add_f16_e32 v20, v23, v24
	v_add_f16_e32 v24, v24, v34
	v_fma_f16 v23, v24, -0.5, v23
	v_sub_f16_e32 v28, v32, v33
	v_fma_f16 v24, v28, s3, v23
	v_fma_f16 v23, v28, s2, v23
	v_pack_b32_f16 v9, v9, v29
	v_pack_b32_f16 v28, v39, v43
	ds_write2_b32 v3, v9, v28 offset1:100
	v_pack_b32_f16 v9, v42, v12
	ds_write_b32 v3, v9 offset:800
	v_mov_b32_e32 v9, 0x4b0
	v_cmp_lt_u32_e64 s[2:3], 9, v2
	v_lshlrev_b32_e32 v12, 2, v36
	v_pack_b32_f16 v13, v35, v13
	v_cndmask_b32_e64 v9, 0, v9, s[2:3]
	v_add_u32_e32 v9, 0, v9
	v_add3_u32 v9, v9, v12, v15
	v_pack_b32_f16 v12, v55, v44
	v_pack_b32_f16 v6, v6, v10
	ds_write2_b32 v9, v12, v13 offset1:100
	ds_write_b32 v9, v6 offset:800
	v_mad_u32_u24 v6, v37, s6, 0
	v_lshlrev_b32_e32 v9, 2, v38
	v_add_f16_e32 v19, v19, v33
	v_add_f16_e32 v20, v20, v34
	v_add3_u32 v6, v6, v9, v15
	v_pack_b32_f16 v9, v30, v40
	v_pack_b32_f16 v10, v31, v11
	;; [unrolled: 1-line block ×3, first 2 shown]
	ds_write2_b32 v6, v9, v10 offset1:100
	ds_write_b32 v6, v7 offset:800
	s_and_saveexec_b64 s[2:3], s[0:1]
	s_cbranch_execz .LBB0_21
; %bb.20:
	v_lshlrev_b32_e32 v6, 2, v27
	v_add3_u32 v6, 0, v6, v15
	s_mov_b32 s6, 0x5040100
	v_perm_b32 v7, v20, v19, s6
	v_perm_b32 v8, v24, v22, s6
	v_add_u32_e32 v9, 0x800, v6
	ds_write2_b32 v9, v7, v8 offset0:88 offset1:188
	v_perm_b32 v7, v23, v21, s6
	ds_write_b32 v6, v7 offset:3200
.LBB0_21:
	s_or_b64 exec, exec, s[2:3]
	v_add_u32_e32 v6, 0x400, v3
	s_waitcnt lgkmcnt(0)
	s_barrier
	ds_read2_b32 v[12:13], v6 offset0:44 offset1:134
	v_add_u32_e32 v6, 0x600, v3
	v_add_u32_e32 v10, 0xa00, v3
	ds_read_b32 v16, v16
	ds_read2_b32 v[8:9], v6 offset0:96 offset1:216
	ds_read2_b32 v[6:7], v3 offset0:90 offset1:180
	ds_read2_b32 v[10:11], v10 offset0:50 offset1:140
	v_mul_i32_i24_e32 v27, 0xffffffdc, v2
	s_and_saveexec_b64 s[2:3], s[0:1]
	s_cbranch_execz .LBB0_23
; %bb.22:
	ds_read_b32 v19, v3 offset:1080
	ds_read_b32 v21, v3 offset:3480
	ds_read_b32 v22, v3 offset:2280
	s_waitcnt lgkmcnt(2)
	v_lshrrev_b32_e32 v20, 16, v19
	s_waitcnt lgkmcnt(1)
	v_lshrrev_b32_e32 v23, 16, v21
	;; [unrolled: 2-line block ×3, first 2 shown]
.LBB0_23:
	s_or_b64 exec, exec, s[2:3]
	global_load_dwordx2 v[28:29], v[4:5], off offset:1160
	v_lshlrev_b32_e32 v4, 1, v25
	v_mov_b32_e32 v5, 0
	v_lshl_add_u64 v[30:31], v[4:5], 2, s[4:5]
	v_lshlrev_b32_e32 v4, 1, v26
	global_load_dwordx2 v[30:31], v[30:31], off offset:1160
	v_lshl_add_u64 v[32:33], v[4:5], 2, s[4:5]
	global_load_dwordx2 v[32:33], v[32:33], off offset:1160
	s_waitcnt lgkmcnt(2)
	v_lshrrev_b32_e32 v36, 16, v9
	v_lshrrev_b32_e32 v37, 16, v12
	;; [unrolled: 1-line block ×3, first 2 shown]
	s_waitcnt lgkmcnt(0)
	v_lshrrev_b32_e32 v34, 16, v10
	v_lshrrev_b32_e32 v35, 16, v13
	v_add3_u32 v15, v17, v27, v15
	v_lshrrev_b32_e32 v17, 16, v11
	v_lshrrev_b32_e32 v27, 16, v8
	;; [unrolled: 1-line block ×3, first 2 shown]
	s_movk_i32 s6, 0x3aee
	s_mov_b32 s7, 0xbaee
	v_lshrrev_b32_e32 v26, 16, v7
	s_barrier
	s_waitcnt vmcnt(2)
	v_mul_f16_sdwa v38, v28, v37 dst_sel:DWORD dst_unused:UNUSED_PAD src0_sel:WORD_1 src1_sel:DWORD
	v_mul_f16_sdwa v39, v28, v12 dst_sel:DWORD dst_unused:UNUSED_PAD src0_sel:WORD_1 src1_sel:DWORD
	;; [unrolled: 1-line block ×4, first 2 shown]
	v_fma_f16 v12, v28, v12, -v38
	v_fma_f16 v28, v28, v37, v39
	v_fma_f16 v9, v29, v9, -v40
	v_fma_f16 v29, v29, v36, v41
	s_waitcnt vmcnt(1)
	v_mul_f16_sdwa v36, v30, v35 dst_sel:DWORD dst_unused:UNUSED_PAD src0_sel:WORD_1 src1_sel:DWORD
	v_mul_f16_sdwa v37, v30, v13 dst_sel:DWORD dst_unused:UNUSED_PAD src0_sel:WORD_1 src1_sel:DWORD
	;; [unrolled: 1-line block ×4, first 2 shown]
	v_sub_f16_e32 v42, v28, v29
	v_add_f16_e32 v43, v4, v28
	v_add_f16_e32 v28, v28, v29
	;; [unrolled: 1-line block ×4, first 2 shown]
	v_sub_f16_e32 v12, v12, v9
	v_fma_f16 v13, v30, v13, -v36
	v_fma_f16 v30, v30, v35, v37
	v_fma_f16 v10, v31, v10, -v38
	v_fma_f16 v31, v31, v34, v39
	s_waitcnt vmcnt(0)
	v_mul_f16_sdwa v34, v32, v27 dst_sel:DWORD dst_unused:UNUSED_PAD src0_sel:WORD_1 src1_sel:DWORD
	v_mul_f16_sdwa v35, v32, v8 dst_sel:DWORD dst_unused:UNUSED_PAD src0_sel:WORD_1 src1_sel:DWORD
	v_mul_f16_sdwa v36, v33, v17 dst_sel:DWORD dst_unused:UNUSED_PAD src0_sel:WORD_1 src1_sel:DWORD
	v_mul_f16_sdwa v37, v33, v11 dst_sel:DWORD dst_unused:UNUSED_PAD src0_sel:WORD_1 src1_sel:DWORD
	v_fma_f16 v4, v28, -0.5, v4
	v_fma_f16 v16, v41, -0.5, v16
	v_fma_f16 v8, v32, v8, -v34
	v_fma_f16 v27, v32, v27, v35
	v_fma_f16 v11, v33, v11, -v36
	v_fma_f16 v17, v33, v17, v37
	v_fma_f16 v32, v12, s7, v4
	;; [unrolled: 1-line block ×3, first 2 shown]
	v_add_f16_e32 v12, v6, v13
	v_add_f16_e32 v33, v13, v10
	v_sub_f16_e32 v34, v30, v31
	v_add_f16_e32 v35, v25, v30
	v_add_f16_e32 v30, v30, v31
	v_fma_f16 v28, v42, s6, v16
	v_fma_f16 v16, v42, s7, v16
	v_sub_f16_e32 v13, v13, v10
	v_add_f16_e32 v10, v12, v10
	v_fma_f16 v6, v33, -0.5, v6
	v_add_f16_e32 v12, v35, v31
	v_fma_f16 v25, v30, -0.5, v25
	v_sub_f16_e32 v33, v27, v17
	v_add_f16_e32 v35, v26, v27
	v_add_f16_e32 v27, v27, v17
	;; [unrolled: 1-line block ×6, first 2 shown]
	v_sub_f16_e32 v8, v8, v11
	v_fma_f16 v36, v34, s6, v6
	v_fma_f16 v6, v34, s7, v6
	;; [unrolled: 1-line block ×4, first 2 shown]
	v_fma_f16 v25, v27, -0.5, v26
	v_pack_b32_f16 v4, v16, v4
	v_add_f16_e32 v11, v30, v11
	v_add_f16_e32 v17, v35, v17
	v_fma_f16 v27, v8, s7, v25
	v_fma_f16 v8, v8, s6, v25
	v_pack_b32_f16 v9, v9, v29
	v_pack_b32_f16 v25, v28, v32
	ds_write_b32 v3, v4 offset:2400
	v_pack_b32_f16 v4, v10, v12
	v_fma_f16 v7, v31, -0.5, v7
	ds_write_b32 v3, v25 offset:1200
	ds_write2_b32 v3, v9, v4 offset1:90
	ds_write_b16 v15, v36 offset:1560
	ds_write_b16 v15, v34 offset:1562
	;; [unrolled: 1-line block ×4, first 2 shown]
	v_pack_b32_f16 v4, v11, v17
	v_fma_f16 v26, v33, s6, v7
	v_fma_f16 v7, v33, s7, v7
	ds_write_b32 v3, v4 offset:720
	ds_write_b16 v15, v26 offset:1920
	ds_write_b16 v15, v27 offset:1922
	;; [unrolled: 1-line block ×4, first 2 shown]
	s_and_saveexec_b64 s[2:3], s[0:1]
	s_cbranch_execz .LBB0_25
; %bb.24:
	v_subrev_u32_e32 v4, 30, v2
	v_cndmask_b32_e64 v4, v4, v18, s[0:1]
	v_lshlrev_b32_e32 v4, 1, v4
	v_lshl_add_u64 v[4:5], v[4:5], 2, s[4:5]
	global_load_dwordx2 v[4:5], v[4:5], off offset:1160
	s_waitcnt vmcnt(0)
	v_mul_f16_sdwa v6, v24, v4 dst_sel:DWORD dst_unused:UNUSED_PAD src0_sel:DWORD src1_sel:WORD_1
	v_mul_f16_sdwa v7, v23, v5 dst_sel:DWORD dst_unused:UNUSED_PAD src0_sel:DWORD src1_sel:WORD_1
	;; [unrolled: 1-line block ×4, first 2 shown]
	v_fma_f16 v6, v22, v4, -v6
	v_fma_f16 v7, v21, v5, -v7
	v_fma_f16 v4, v24, v4, v8
	v_fma_f16 v5, v23, v5, v9
	v_add_f16_e32 v9, v4, v5
	v_add_f16_e32 v10, v20, v4
	;; [unrolled: 1-line block ×3, first 2 shown]
	v_sub_f16_e32 v8, v6, v7
	v_sub_f16_e32 v4, v4, v5
	v_add_f16_e32 v6, v19, v6
	v_fma_f16 v9, v9, -0.5, v20
	v_add_f16_e32 v5, v10, v5
	v_fma_f16 v10, v11, -0.5, v19
	v_add_f16_e32 v6, v6, v7
	v_fma_f16 v7, v8, s6, v9
	v_fma_f16 v8, v8, s7, v9
	;; [unrolled: 1-line block ×4, first 2 shown]
	v_pack_b32_f16 v5, v6, v5
	v_pack_b32_f16 v4, v4, v8
	ds_write_b32 v3, v5 offset:1080
	v_pack_b32_f16 v5, v9, v7
	ds_write_b32 v3, v4 offset:2280
	ds_write_b32 v3, v5 offset:3480
.LBB0_25:
	s_or_b64 exec, exec, s[2:3]
	s_waitcnt lgkmcnt(0)
	s_barrier
	s_and_saveexec_b64 s[0:1], vcc
	s_cbranch_execz .LBB0_27
; %bb.26:
	v_lshl_add_u32 v10, v2, 2, v14
	ds_read2_b32 v[4:5], v10 offset1:90
	v_mov_b32_e32 v3, 0
	v_lshl_add_u64 v[8:9], v[2:3], 2, v[0:1]
	v_add_u32_e32 v6, 0x5a, v2
	v_mov_b32_e32 v7, v3
	s_waitcnt lgkmcnt(0)
	global_store_dword v[8:9], v4, off
	v_add_u32_e32 v4, 0x200, v10
	ds_read2_b32 v[8:9], v4 offset0:52 offset1:142
	v_lshl_add_u64 v[6:7], v[6:7], 2, v[0:1]
	global_store_dword v[6:7], v5, off
	v_add_u32_e32 v4, 0xb4, v2
	v_mov_b32_e32 v5, v3
	v_add_u32_e32 v6, 0x400, v10
	v_lshl_add_u64 v[4:5], v[4:5], 2, v[0:1]
	ds_read2_b32 v[6:7], v6 offset0:104 offset1:194
	s_waitcnt lgkmcnt(1)
	global_store_dword v[4:5], v8, off
	v_add_u32_e32 v4, 0x10e, v2
	v_mov_b32_e32 v5, v3
	v_lshl_add_u64 v[4:5], v[4:5], 2, v[0:1]
	global_store_dword v[4:5], v9, off
	v_add_u32_e32 v4, 0x168, v2
	v_mov_b32_e32 v5, v3
	v_lshl_add_u64 v[4:5], v[4:5], 2, v[0:1]
	s_waitcnt lgkmcnt(0)
	global_store_dword v[4:5], v6, off
	v_add_u32_e32 v6, 0x800, v10
	ds_read2_b32 v[8:9], v6 offset0:28 offset1:118
	v_add_u32_e32 v4, 0x1c2, v2
	v_mov_b32_e32 v5, v3
	v_lshl_add_u64 v[4:5], v[4:5], 2, v[0:1]
	global_store_dword v[4:5], v7, off
	v_add_u32_e32 v4, 0x21c, v2
	v_mov_b32_e32 v5, v3
	v_add_u32_e32 v6, 0xa00, v10
	v_lshl_add_u64 v[4:5], v[4:5], 2, v[0:1]
	ds_read2_b32 v[6:7], v6 offset0:80 offset1:170
	s_waitcnt lgkmcnt(1)
	global_store_dword v[4:5], v8, off
	v_add_u32_e32 v4, 0x276, v2
	v_mov_b32_e32 v5, v3
	v_lshl_add_u64 v[4:5], v[4:5], 2, v[0:1]
	global_store_dword v[4:5], v9, off
	v_add_u32_e32 v4, 0x2d0, v2
	v_mov_b32_e32 v5, v3
	v_add_u32_e32 v2, 0x32a, v2
	v_lshl_add_u64 v[4:5], v[4:5], 2, v[0:1]
	v_lshl_add_u64 v[0:1], v[2:3], 2, v[0:1]
	s_waitcnt lgkmcnt(0)
	global_store_dword v[4:5], v6, off
	global_store_dword v[0:1], v7, off
.LBB0_27:
	s_endpgm
	.section	.rodata,"a",@progbits
	.p2align	6, 0x0
	.amdhsa_kernel fft_rtc_fwd_len900_factors_10_10_3_3_wgs_180_tpt_90_halfLds_half_ip_CI_unitstride_sbrr_C2R_dirReg
		.amdhsa_group_segment_fixed_size 0
		.amdhsa_private_segment_fixed_size 0
		.amdhsa_kernarg_size 88
		.amdhsa_user_sgpr_count 2
		.amdhsa_user_sgpr_dispatch_ptr 0
		.amdhsa_user_sgpr_queue_ptr 0
		.amdhsa_user_sgpr_kernarg_segment_ptr 1
		.amdhsa_user_sgpr_dispatch_id 0
		.amdhsa_user_sgpr_kernarg_preload_length 0
		.amdhsa_user_sgpr_kernarg_preload_offset 0
		.amdhsa_user_sgpr_private_segment_size 0
		.amdhsa_uses_dynamic_stack 0
		.amdhsa_enable_private_segment 0
		.amdhsa_system_sgpr_workgroup_id_x 1
		.amdhsa_system_sgpr_workgroup_id_y 0
		.amdhsa_system_sgpr_workgroup_id_z 0
		.amdhsa_system_sgpr_workgroup_info 0
		.amdhsa_system_vgpr_workitem_id 0
		.amdhsa_next_free_vgpr 56
		.amdhsa_next_free_sgpr 22
		.amdhsa_accum_offset 56
		.amdhsa_reserve_vcc 1
		.amdhsa_float_round_mode_32 0
		.amdhsa_float_round_mode_16_64 0
		.amdhsa_float_denorm_mode_32 3
		.amdhsa_float_denorm_mode_16_64 3
		.amdhsa_dx10_clamp 1
		.amdhsa_ieee_mode 1
		.amdhsa_fp16_overflow 0
		.amdhsa_tg_split 0
		.amdhsa_exception_fp_ieee_invalid_op 0
		.amdhsa_exception_fp_denorm_src 0
		.amdhsa_exception_fp_ieee_div_zero 0
		.amdhsa_exception_fp_ieee_overflow 0
		.amdhsa_exception_fp_ieee_underflow 0
		.amdhsa_exception_fp_ieee_inexact 0
		.amdhsa_exception_int_div_zero 0
	.end_amdhsa_kernel
	.text
.Lfunc_end0:
	.size	fft_rtc_fwd_len900_factors_10_10_3_3_wgs_180_tpt_90_halfLds_half_ip_CI_unitstride_sbrr_C2R_dirReg, .Lfunc_end0-fft_rtc_fwd_len900_factors_10_10_3_3_wgs_180_tpt_90_halfLds_half_ip_CI_unitstride_sbrr_C2R_dirReg
                                        ; -- End function
	.section	.AMDGPU.csdata,"",@progbits
; Kernel info:
; codeLenInByte = 7916
; NumSgprs: 28
; NumVgprs: 56
; NumAgprs: 0
; TotalNumVgprs: 56
; ScratchSize: 0
; MemoryBound: 0
; FloatMode: 240
; IeeeMode: 1
; LDSByteSize: 0 bytes/workgroup (compile time only)
; SGPRBlocks: 3
; VGPRBlocks: 6
; NumSGPRsForWavesPerEU: 28
; NumVGPRsForWavesPerEU: 56
; AccumOffset: 56
; Occupancy: 8
; WaveLimiterHint : 1
; COMPUTE_PGM_RSRC2:SCRATCH_EN: 0
; COMPUTE_PGM_RSRC2:USER_SGPR: 2
; COMPUTE_PGM_RSRC2:TRAP_HANDLER: 0
; COMPUTE_PGM_RSRC2:TGID_X_EN: 1
; COMPUTE_PGM_RSRC2:TGID_Y_EN: 0
; COMPUTE_PGM_RSRC2:TGID_Z_EN: 0
; COMPUTE_PGM_RSRC2:TIDIG_COMP_CNT: 0
; COMPUTE_PGM_RSRC3_GFX90A:ACCUM_OFFSET: 13
; COMPUTE_PGM_RSRC3_GFX90A:TG_SPLIT: 0
	.text
	.p2alignl 6, 3212836864
	.fill 256, 4, 3212836864
	.type	__hip_cuid_1869dc2a27c4bef5,@object ; @__hip_cuid_1869dc2a27c4bef5
	.section	.bss,"aw",@nobits
	.globl	__hip_cuid_1869dc2a27c4bef5
__hip_cuid_1869dc2a27c4bef5:
	.byte	0                               ; 0x0
	.size	__hip_cuid_1869dc2a27c4bef5, 1

	.ident	"AMD clang version 19.0.0git (https://github.com/RadeonOpenCompute/llvm-project roc-6.4.0 25133 c7fe45cf4b819c5991fe208aaa96edf142730f1d)"
	.section	".note.GNU-stack","",@progbits
	.addrsig
	.addrsig_sym __hip_cuid_1869dc2a27c4bef5
	.amdgpu_metadata
---
amdhsa.kernels:
  - .agpr_count:     0
    .args:
      - .actual_access:  read_only
        .address_space:  global
        .offset:         0
        .size:           8
        .value_kind:     global_buffer
      - .offset:         8
        .size:           8
        .value_kind:     by_value
      - .actual_access:  read_only
        .address_space:  global
        .offset:         16
        .size:           8
        .value_kind:     global_buffer
      - .actual_access:  read_only
        .address_space:  global
        .offset:         24
        .size:           8
        .value_kind:     global_buffer
      - .offset:         32
        .size:           8
        .value_kind:     by_value
      - .actual_access:  read_only
        .address_space:  global
        .offset:         40
        .size:           8
        .value_kind:     global_buffer
      - .actual_access:  read_only
        .address_space:  global
        .offset:         48
        .size:           8
        .value_kind:     global_buffer
      - .offset:         56
        .size:           4
        .value_kind:     by_value
      - .actual_access:  read_only
        .address_space:  global
        .offset:         64
        .size:           8
        .value_kind:     global_buffer
      - .actual_access:  read_only
        .address_space:  global
        .offset:         72
        .size:           8
        .value_kind:     global_buffer
      - .address_space:  global
        .offset:         80
        .size:           8
        .value_kind:     global_buffer
    .group_segment_fixed_size: 0
    .kernarg_segment_align: 8
    .kernarg_segment_size: 88
    .language:       OpenCL C
    .language_version:
      - 2
      - 0
    .max_flat_workgroup_size: 180
    .name:           fft_rtc_fwd_len900_factors_10_10_3_3_wgs_180_tpt_90_halfLds_half_ip_CI_unitstride_sbrr_C2R_dirReg
    .private_segment_fixed_size: 0
    .sgpr_count:     28
    .sgpr_spill_count: 0
    .symbol:         fft_rtc_fwd_len900_factors_10_10_3_3_wgs_180_tpt_90_halfLds_half_ip_CI_unitstride_sbrr_C2R_dirReg.kd
    .uniform_work_group_size: 1
    .uses_dynamic_stack: false
    .vgpr_count:     56
    .vgpr_spill_count: 0
    .wavefront_size: 64
amdhsa.target:   amdgcn-amd-amdhsa--gfx950
amdhsa.version:
  - 1
  - 2
...

	.end_amdgpu_metadata
